;; amdgpu-corpus repo=llvm/llvm-project kind=harvested arch=n/a opt=n/a
// NOTE: Assertions have been autogenerated by utils/update_mc_test_checks.py UTC_ARGS: --unique --sort --version 6
// RUN: not llvm-mc -triple=amdgcn -mcpu=gfx942 %s -filetype=null 2>&1 | FileCheck --check-prefix=GFX942 --implicit-check-not=error: %s

buffer_atomic_swap v5, off, s[8:11], s3 glc
// GFX942: :[[@LINE-1]]:41: error: invalid operand for instruction

buffer_atomic_swap v5, off, s[8:11], s3 slc
// GFX942: :[[@LINE-1]]:41: error: invalid operand for instruction

buffer_invl2
// GFX942: :[[@LINE-1]]:1: error: instruction not supported on this GPU (gfx942): buffer_invl2

buffer_wbl2 glc
// GFX942: :[[@LINE-1]]:13: error: invalid operand for instruction

buffer_wbl2 scc
// GFX942: :[[@LINE-1]]:13: error: invalid operand for instruction

ds_ordered_count v5, v1 offset:65535 gds
// GFX942: :[[@LINE-1]]:1: error: instruction not supported on this GPU (gfx942): ds_ordered_count

exp pos0 v3, v2, v1, v0
// GFX942: :[[@LINE-1]]:1: error: instruction not supported on this GPU (gfx942): exp

global_load_dword v2, v[2:3], off glc
// GFX942: :[[@LINE-1]]:35: error: invalid operand for instruction

global_load_dword v2, v[2:3], off scc
// GFX942: :[[@LINE-1]]:35: error: invalid operand for instruction

global_load_dword v2, v[2:3], off slc
// GFX942: :[[@LINE-1]]:35: error: invalid operand for instruction

global_load_dword v[2:3], off lds
// GFX942: :[[@LINE-1]]:27: error: invalid operand for instruction

s_getreg_b32 s1, hwreg(HW_REG_FLAT_SCR_HI)
// GFX942: :[[@LINE-1]]:24: error: invalid hardware register: not supported on this GPU

s_getreg_b32 s1, hwreg(HW_REG_FLAT_SCR_LO)
// GFX942: :[[@LINE-1]]:24: error: invalid hardware register: not supported on this GPU

s_getreg_b32 s1, hwreg(HW_REG_HW_ID1)
// GFX942: :[[@LINE-1]]:24: error: invalid hardware register: not supported on this GPU

s_getreg_b32 s1, hwreg(HW_REG_HW_ID2)
// GFX942: :[[@LINE-1]]:24: error: invalid hardware register: not supported on this GPU

s_getreg_b32 s1, hwreg(HW_REG_POPS_PACKER)
// GFX942: :[[@LINE-1]]:24: error: invalid hardware register: not supported on this GPU

s_getreg_b32 s1, hwreg(HW_REG_XNACK_MASK)
// GFX942: :[[@LINE-1]]:24: error: invalid hardware register: not supported on this GPU

s_load_dword s2, s[2:3], 0x0 sc0
// GFX942: :[[@LINE-1]]:30: error: invalid operand for instruction

scratch_load_dword v2, off lds
// GFX942: :[[@LINE-1]]:28: error: invalid operand for instruction

v_cvt_f32_fp8 v1, sext(v3) src0_sel:BYTE_1
// GFX942: :[[@LINE-1]]:19: error: not a valid operand.

v_cvt_pk_f32_bf8 v[2:3], sext(v3) src0_sel:BYTE_1
// GFX942: :[[@LINE-1]]:26: error: not a valid operand.

v_cvt_pk_fp8_f32 v1, v2, v3 clamp
// GFX942: :[[@LINE-1]]:29: error: invalid operand for instruction

v_cvt_pk_fp8_f32 v1, v2, v3 mul:2
// GFX942: :[[@LINE-1]]:29: error: not a valid operand.

v_cvt_sr_bf8_f32 v1, v2, -v3
// GFX942: :[[@LINE-1]]:26: error: not a valid operand.

v_cvt_sr_fp8_f32 v1, v2, -v3
// GFX942: :[[@LINE-1]]:26: error: not a valid operand.

v_cvt_sr_fp8_f32 v1, v2, v3 clamp
// GFX942: :[[@LINE-1]]:29: error: invalid operand for instruction

v_cvt_sr_fp8_f32 v1, v2, v3 mul:2
// GFX942: :[[@LINE-1]]:29: error: not a valid operand.

v_dot2_u32_u16 v0, 1, v0, s2 op_sel:[0,1,0,1] op_sel_hi:[0,0,1,1]
// GFX942: :[[@LINE-1]]:30: error: invalid op_sel operand

v_mac_f32 v0, v1, v2
// GFX942: :[[@LINE-1]]:1: error: instruction not supported on this GPU (gfx942): v_mac_f32

v_mac_f32_dpp v5, v1, v2 dpp8:[7,6,5,4,3,2,1,0]
// GFX942: :[[@LINE-1]]:1: error: instruction not supported on this GPU (gfx942): v_mac_f32

v_mac_f32_dpp v5, v1, v2 quad_perm:[0,1,2,3] row_mask:0xf bank_mask:0xf
// GFX942: :[[@LINE-1]]:1: error: instruction not supported on this GPU (gfx942): v_mac_f32

v_mac_f32_e64 v5, v1, v2
// GFX942: :[[@LINE-1]]:1: error: instruction not supported on this GPU (gfx942): v_mac_f32

v_mac_f32_sdwa v5, v1, v2 dst_sel:DWORD dst_unused:UNUSED_PRESERVE src0_sel:DWORD src1_sel:DWORD
// GFX942: :[[@LINE-1]]:1: error: instruction not supported on this GPU (gfx942): v_mac_f32

v_mad_f32 v0, v1, v2, v3
// GFX942: :[[@LINE-1]]:1: error: instruction not supported on this GPU (gfx942): v_mad_f32

v_mad_legacy_f32 v0, v1, v2, v3
// GFX942: :[[@LINE-1]]:1: error: instruction not supported on this GPU (gfx942): v_mad_legacy_f32

v_madak_f32 v0, v1, v2, 0
// GFX942: :[[@LINE-1]]:1: error: instruction not supported on this GPU (gfx942): v_madak_f32

v_madmk_f32 v0, v1, 0, v2
// GFX942: :[[@LINE-1]]:1: error: instruction not supported on this GPU (gfx942): v_madmk_f32

v_mov_b64 v[2:3], -v[4:5]
// GFX942: :[[@LINE-1]]:19: error: not a valid operand.

v_mov_b64 v[2:3], v[4:5] dst_sel:BYTE_0 dst_unused:UNUSED_PRESERVE src0_sel:DWORD
// GFX942: :[[@LINE-1]]:26: error: not a valid operand.

v_mov_b64 v[2:3], v[4:5] row_shl:1
// GFX942: :[[@LINE-1]]:26: error: DP ALU dpp only supports row_newbcast

v_mov_b64 v[2:3], |v[4:5]|
// GFX942: :[[@LINE-1]]:19: error: not a valid operand.

v_mov_b64_sdwa v[2:3], v[4:5]
// GFX942: :[[@LINE-1]]:1: error: sdwa variant of this instruction is not supported
